;; amdgpu-corpus repo=ROCm/rocFFT kind=compiled arch=gfx1030 opt=O3
	.text
	.amdgcn_target "amdgcn-amd-amdhsa--gfx1030"
	.amdhsa_code_object_version 6
	.protected	fft_rtc_fwd_len99_factors_3_3_11_wgs_220_tpt_11_half_ip_CI_unitstride_sbrr_dirReg ; -- Begin function fft_rtc_fwd_len99_factors_3_3_11_wgs_220_tpt_11_half_ip_CI_unitstride_sbrr_dirReg
	.globl	fft_rtc_fwd_len99_factors_3_3_11_wgs_220_tpt_11_half_ip_CI_unitstride_sbrr_dirReg
	.p2align	8
	.type	fft_rtc_fwd_len99_factors_3_3_11_wgs_220_tpt_11_half_ip_CI_unitstride_sbrr_dirReg,@function
fft_rtc_fwd_len99_factors_3_3_11_wgs_220_tpt_11_half_ip_CI_unitstride_sbrr_dirReg: ; @fft_rtc_fwd_len99_factors_3_3_11_wgs_220_tpt_11_half_ip_CI_unitstride_sbrr_dirReg
; %bb.0:
	s_load_dwordx4 s[8:11], s[4:5], 0x0
	v_mul_u32_u24_e32 v1, 0x1746, v0
	s_clause 0x1
	s_load_dwordx2 s[2:3], s[4:5], 0x50
	s_load_dwordx2 s[12:13], s[4:5], 0x18
	v_lshrrev_b32_e32 v2, 16, v1
	v_mov_b32_e32 v1, 0
	v_mad_u64_u32 v[5:6], null, s6, 20, v[2:3]
	v_mov_b32_e32 v6, v1
	v_mov_b32_e32 v3, 0
	;; [unrolled: 1-line block ×5, first 2 shown]
	s_waitcnt lgkmcnt(0)
	v_cmp_lt_u64_e64 s0, s[10:11], 2
	s_and_b32 vcc_lo, exec_lo, s0
	s_cbranch_vccnz .LBB0_8
; %bb.1:
	s_load_dwordx2 s[0:1], s[4:5], 0x10
	v_mov_b32_e32 v3, 0
	v_mov_b32_e32 v7, v6
	s_add_u32 s6, s12, 8
	v_mov_b32_e32 v4, 0
	v_mov_b32_e32 v6, v5
	s_addc_u32 s7, s13, 0
	s_mov_b64 s[16:17], 1
	s_waitcnt lgkmcnt(0)
	s_add_u32 s14, s0, 8
	s_addc_u32 s15, s1, 0
.LBB0_2:                                ; =>This Inner Loop Header: Depth=1
	s_load_dwordx2 s[18:19], s[14:15], 0x0
                                        ; implicit-def: $vgpr8_vgpr9
	s_mov_b32 s0, exec_lo
	s_waitcnt lgkmcnt(0)
	v_or_b32_e32 v2, s19, v7
	v_cmpx_ne_u64_e32 0, v[1:2]
	s_xor_b32 s1, exec_lo, s0
	s_cbranch_execz .LBB0_4
; %bb.3:                                ;   in Loop: Header=BB0_2 Depth=1
	v_cvt_f32_u32_e32 v2, s18
	v_cvt_f32_u32_e32 v8, s19
	s_sub_u32 s0, 0, s18
	s_subb_u32 s20, 0, s19
	v_fmac_f32_e32 v2, 0x4f800000, v8
	v_rcp_f32_e32 v2, v2
	v_mul_f32_e32 v2, 0x5f7ffffc, v2
	v_mul_f32_e32 v8, 0x2f800000, v2
	v_trunc_f32_e32 v8, v8
	v_fmac_f32_e32 v2, 0xcf800000, v8
	v_cvt_u32_f32_e32 v8, v8
	v_cvt_u32_f32_e32 v2, v2
	v_mul_lo_u32 v9, s0, v8
	v_mul_hi_u32 v10, s0, v2
	v_mul_lo_u32 v11, s20, v2
	v_add_nc_u32_e32 v9, v10, v9
	v_mul_lo_u32 v10, s0, v2
	v_add_nc_u32_e32 v9, v9, v11
	v_mul_hi_u32 v11, v2, v10
	v_mul_lo_u32 v12, v2, v9
	v_mul_hi_u32 v13, v2, v9
	v_mul_hi_u32 v14, v8, v10
	v_mul_lo_u32 v10, v8, v10
	v_mul_hi_u32 v15, v8, v9
	v_mul_lo_u32 v9, v8, v9
	v_add_co_u32 v11, vcc_lo, v11, v12
	v_add_co_ci_u32_e32 v12, vcc_lo, 0, v13, vcc_lo
	v_add_co_u32 v10, vcc_lo, v11, v10
	v_add_co_ci_u32_e32 v10, vcc_lo, v12, v14, vcc_lo
	v_add_co_ci_u32_e32 v11, vcc_lo, 0, v15, vcc_lo
	v_add_co_u32 v9, vcc_lo, v10, v9
	v_add_co_ci_u32_e32 v10, vcc_lo, 0, v11, vcc_lo
	v_add_co_u32 v2, vcc_lo, v2, v9
	v_add_co_ci_u32_e32 v8, vcc_lo, v8, v10, vcc_lo
	v_mul_hi_u32 v9, s0, v2
	v_mul_lo_u32 v11, s20, v2
	v_mul_lo_u32 v10, s0, v8
	v_add_nc_u32_e32 v9, v9, v10
	v_mul_lo_u32 v10, s0, v2
	v_add_nc_u32_e32 v9, v9, v11
	v_mul_hi_u32 v11, v2, v10
	v_mul_lo_u32 v12, v2, v9
	v_mul_hi_u32 v13, v2, v9
	v_mul_hi_u32 v14, v8, v10
	v_mul_lo_u32 v10, v8, v10
	v_mul_hi_u32 v15, v8, v9
	v_mul_lo_u32 v9, v8, v9
	v_add_co_u32 v11, vcc_lo, v11, v12
	v_add_co_ci_u32_e32 v12, vcc_lo, 0, v13, vcc_lo
	v_add_co_u32 v10, vcc_lo, v11, v10
	v_add_co_ci_u32_e32 v10, vcc_lo, v12, v14, vcc_lo
	v_add_co_ci_u32_e32 v11, vcc_lo, 0, v15, vcc_lo
	v_add_co_u32 v9, vcc_lo, v10, v9
	v_add_co_ci_u32_e32 v10, vcc_lo, 0, v11, vcc_lo
	v_add_co_u32 v2, vcc_lo, v2, v9
	v_add_co_ci_u32_e32 v12, vcc_lo, v8, v10, vcc_lo
	v_mul_hi_u32 v14, v6, v2
	v_mad_u64_u32 v[10:11], null, v7, v2, 0
	v_mad_u64_u32 v[8:9], null, v6, v12, 0
	v_mad_u64_u32 v[12:13], null, v7, v12, 0
	v_add_co_u32 v2, vcc_lo, v14, v8
	v_add_co_ci_u32_e32 v8, vcc_lo, 0, v9, vcc_lo
	v_add_co_u32 v2, vcc_lo, v2, v10
	v_add_co_ci_u32_e32 v2, vcc_lo, v8, v11, vcc_lo
	v_add_co_ci_u32_e32 v8, vcc_lo, 0, v13, vcc_lo
	v_add_co_u32 v2, vcc_lo, v2, v12
	v_add_co_ci_u32_e32 v10, vcc_lo, 0, v8, vcc_lo
	v_mul_lo_u32 v11, s19, v2
	v_mad_u64_u32 v[8:9], null, s18, v2, 0
	v_mul_lo_u32 v12, s18, v10
	v_sub_co_u32 v8, vcc_lo, v6, v8
	v_add3_u32 v9, v9, v12, v11
	v_sub_nc_u32_e32 v11, v7, v9
	v_subrev_co_ci_u32_e64 v11, s0, s19, v11, vcc_lo
	v_add_co_u32 v12, s0, v2, 2
	v_add_co_ci_u32_e64 v13, s0, 0, v10, s0
	v_sub_co_u32 v14, s0, v8, s18
	v_sub_co_ci_u32_e32 v9, vcc_lo, v7, v9, vcc_lo
	v_subrev_co_ci_u32_e64 v11, s0, 0, v11, s0
	v_cmp_le_u32_e32 vcc_lo, s18, v14
	v_cmp_eq_u32_e64 s0, s19, v9
	v_cndmask_b32_e64 v14, 0, -1, vcc_lo
	v_cmp_le_u32_e32 vcc_lo, s19, v11
	v_cndmask_b32_e64 v15, 0, -1, vcc_lo
	v_cmp_le_u32_e32 vcc_lo, s18, v8
	;; [unrolled: 2-line block ×3, first 2 shown]
	v_cndmask_b32_e64 v16, 0, -1, vcc_lo
	v_cmp_eq_u32_e32 vcc_lo, s19, v11
	v_cndmask_b32_e64 v8, v16, v8, s0
	v_cndmask_b32_e32 v11, v15, v14, vcc_lo
	v_add_co_u32 v14, vcc_lo, v2, 1
	v_add_co_ci_u32_e32 v15, vcc_lo, 0, v10, vcc_lo
	v_cmp_ne_u32_e32 vcc_lo, 0, v11
	v_cndmask_b32_e32 v9, v15, v13, vcc_lo
	v_cndmask_b32_e32 v11, v14, v12, vcc_lo
	v_cmp_ne_u32_e32 vcc_lo, 0, v8
	v_cndmask_b32_e32 v9, v10, v9, vcc_lo
	v_cndmask_b32_e32 v8, v2, v11, vcc_lo
.LBB0_4:                                ;   in Loop: Header=BB0_2 Depth=1
	s_andn2_saveexec_b32 s0, s1
	s_cbranch_execz .LBB0_6
; %bb.5:                                ;   in Loop: Header=BB0_2 Depth=1
	v_cvt_f32_u32_e32 v2, s18
	s_sub_i32 s1, 0, s18
	v_rcp_iflag_f32_e32 v2, v2
	v_mul_f32_e32 v2, 0x4f7ffffe, v2
	v_cvt_u32_f32_e32 v2, v2
	v_mul_lo_u32 v8, s1, v2
	v_mul_hi_u32 v8, v2, v8
	v_add_nc_u32_e32 v2, v2, v8
	v_mul_hi_u32 v2, v6, v2
	v_mul_lo_u32 v8, v2, s18
	v_add_nc_u32_e32 v9, 1, v2
	v_sub_nc_u32_e32 v8, v6, v8
	v_subrev_nc_u32_e32 v10, s18, v8
	v_cmp_le_u32_e32 vcc_lo, s18, v8
	v_cndmask_b32_e32 v8, v8, v10, vcc_lo
	v_cndmask_b32_e32 v2, v2, v9, vcc_lo
	v_cmp_le_u32_e32 vcc_lo, s18, v8
	v_add_nc_u32_e32 v9, 1, v2
	v_cndmask_b32_e32 v8, v2, v9, vcc_lo
	v_mov_b32_e32 v9, v1
.LBB0_6:                                ;   in Loop: Header=BB0_2 Depth=1
	s_or_b32 exec_lo, exec_lo, s0
	s_load_dwordx2 s[0:1], s[6:7], 0x0
	v_mul_lo_u32 v2, v9, s18
	v_mul_lo_u32 v12, v8, s19
	v_mad_u64_u32 v[10:11], null, v8, s18, 0
	s_add_u32 s16, s16, 1
	s_addc_u32 s17, s17, 0
	s_add_u32 s6, s6, 8
	s_addc_u32 s7, s7, 0
	;; [unrolled: 2-line block ×3, first 2 shown]
	v_add3_u32 v2, v11, v12, v2
	v_sub_co_u32 v6, vcc_lo, v6, v10
	v_sub_co_ci_u32_e32 v2, vcc_lo, v7, v2, vcc_lo
	s_waitcnt lgkmcnt(0)
	v_mul_lo_u32 v7, s1, v6
	v_mul_lo_u32 v2, s0, v2
	v_mad_u64_u32 v[3:4], null, s0, v6, v[3:4]
	v_cmp_ge_u64_e64 s0, s[16:17], s[10:11]
	s_and_b32 vcc_lo, exec_lo, s0
	v_add3_u32 v4, v7, v4, v2
	s_cbranch_vccnz .LBB0_8
; %bb.7:                                ;   in Loop: Header=BB0_2 Depth=1
	v_mov_b32_e32 v6, v8
	v_mov_b32_e32 v7, v9
	s_branch .LBB0_2
.LBB0_8:
	s_lshl_b64 s[0:1], s[10:11], 3
                                        ; implicit-def: $vgpr12
                                        ; implicit-def: $vgpr11
                                        ; implicit-def: $vgpr10
	s_add_u32 s0, s12, s0
	s_addc_u32 s1, s13, s1
	s_load_dwordx2 s[0:1], s[0:1], 0x0
	s_load_dwordx2 s[4:5], s[4:5], 0x20
	s_waitcnt lgkmcnt(0)
	v_mul_lo_u32 v6, s0, v9
	v_mul_lo_u32 v7, s1, v8
	v_mad_u64_u32 v[1:2], null, s0, v8, v[3:4]
	v_mul_hi_u32 v3, 0x1745d175, v0
	v_cmp_gt_u64_e32 vcc_lo, s[4:5], v[8:9]
                                        ; implicit-def: $vgpr4
                                        ; implicit-def: $vgpr8
                                        ; implicit-def: $vgpr9
	v_add3_u32 v2, v7, v2, v6
                                        ; implicit-def: $vgpr7
                                        ; implicit-def: $vgpr6
	v_mul_u32_u24_e32 v3, 11, v3
	v_lshlrev_b64 v[1:2], 2, v[1:2]
	v_sub_nc_u32_e32 v3, v0, v3
                                        ; implicit-def: $vgpr0
	s_and_saveexec_b32 s1, vcc_lo
; %bb.9:
	v_mov_b32_e32 v4, 0
	v_add_co_u32 v0, s0, s2, v1
	v_lshlrev_b64 v[6:7], 2, v[3:4]
	v_add_co_ci_u32_e64 v4, s0, s3, v2, s0
	v_add_co_u32 v13, s0, v0, v6
	v_add_co_ci_u32_e64 v14, s0, v4, v7, s0
	s_clause 0x8
	global_load_dword v0, v[13:14], off
	global_load_dword v4, v[13:14], off offset:44
	global_load_dword v11, v[13:14], off offset:176
	;; [unrolled: 1-line block ×8, first 2 shown]
; %bb.10:
	s_or_b32 exec_lo, exec_lo, s1
	v_mul_hi_u32 v13, 0xcccccccd, v5
	s_waitcnt vmcnt(2)
	v_pk_add_f16 v14, v0, v12
	v_pk_add_f16 v17, v12, v7
	v_pk_add_f16 v12, v12, v7 neg_lo:[0,1] neg_hi:[0,1]
	v_pk_add_f16 v15, v4, v11
	v_pk_add_f16 v18, v11, v6
	v_pk_add_f16 v11, v11, v6 neg_lo:[0,1] neg_hi:[0,1]
	s_waitcnt vmcnt(1)
	v_pk_add_f16 v16, v10, v9
	v_lshrrev_b32_e32 v13, 4, v13
	s_waitcnt vmcnt(0)
	v_pk_add_f16 v19, v8, v10
	v_pk_add_f16 v10, v10, v8 neg_lo:[0,1] neg_hi:[0,1]
	v_pk_fma_f16 v0, v17, 0.5, v0 op_sel_hi:[1,0,1] neg_lo:[1,0,0] neg_hi:[1,0,0]
	v_pk_mul_f16 v12, 0x3aee, v12 op_sel_hi:[0,1]
	v_mul_lo_u32 v13, v13, 20
	v_pk_fma_f16 v4, v18, 0.5, v4 op_sel_hi:[1,0,1] neg_lo:[1,0,0] neg_hi:[1,0,0]
	v_pk_mul_f16 v11, 0x3aee, v11 op_sel_hi:[0,1]
	v_and_b32_e32 v20, 0xff, v3
	v_add_nc_u16 v21, v3, 11
	v_add_nc_u16 v22, v3, 22
	v_pk_add_f16 v8, v8, v16
	v_pk_fma_f16 v9, v19, 0.5, v9 op_sel_hi:[1,0,1] neg_lo:[1,0,0] neg_hi:[1,0,0]
	v_sub_nc_u32_e32 v5, v5, v13
	v_pk_mul_f16 v10, 0x3aee, v10 op_sel_hi:[0,1]
	v_pk_add_f16 v16, v0, v12 op_sel:[0,1] op_sel_hi:[1,0]
	v_pk_add_f16 v0, v0, v12 op_sel:[0,1] op_sel_hi:[1,0] neg_lo:[0,1] neg_hi:[0,1]
	v_pk_add_f16 v7, v14, v7
	v_mul_u32_u24_e32 v5, 0x63, v5
	v_mul_lo_u16 v13, 0xab, v20
	v_and_b32_e32 v14, 0xff, v21
	v_pk_add_f16 v6, v15, v6
	v_and_b32_e32 v15, 0xff, v22
	v_lshlrev_b32_e32 v17, 2, v5
	v_pk_add_f16 v5, v4, v11 op_sel:[0,1] op_sel_hi:[1,0]
	v_pk_add_f16 v4, v4, v11 op_sel:[0,1] op_sel_hi:[1,0] neg_lo:[0,1] neg_hi:[0,1]
	v_pk_add_f16 v11, v9, v10 op_sel:[0,1] op_sel_hi:[1,0]
	v_pk_add_f16 v9, v9, v10 op_sel:[0,1] op_sel_hi:[1,0] neg_lo:[0,1] neg_hi:[0,1]
	v_add_nc_u32_e32 v18, 0, v17
	v_bfi_b32 v10, 0xffff, v16, v0
	v_bfi_b32 v0, 0xffff, v0, v16
	;; [unrolled: 1-line block ×4, first 2 shown]
	v_mad_u32_u24 v16, v3, 12, v18
	v_lshrrev_b16 v19, 9, v13
	v_mul_lo_u16 v5, 0xab, v14
	v_bfi_b32 v13, 0xffff, v11, v9
	v_cmp_gt_u32_e64 s0, 9, v3
	ds_write2_b32 v16, v7, v10 offset1:1
	ds_write2_b32 v16, v6, v12 offset0:33 offset1:34
	ds_write2_b32 v16, v0, v4 offset0:2 offset1:35
	v_mul_lo_u16 v4, 0xab, v15
	v_mul_lo_u16 v0, v19, 3
	v_lshrrev_b16 v5, 9, v5
	v_bfi_b32 v6, 0xffff, v9, v11
	ds_write2_b32 v16, v8, v13 offset0:66 offset1:67
	v_lshrrev_b16 v15, 9, v4
	v_sub_nc_u16 v7, v3, v0
	v_mul_lo_u16 v0, v5, 3
	v_mov_b32_e32 v4, 3
	ds_write_b32 v16, v6 offset:272
	v_mul_lo_u16 v6, v15, 3
	s_waitcnt lgkmcnt(0)
	v_sub_nc_u16 v24, v21, v0
	v_lshlrev_b32_sdwa v0, v4, v7 dst_sel:DWORD dst_unused:UNUSED_PAD src0_sel:DWORD src1_sel:BYTE_0
	s_barrier
	v_sub_nc_u16 v25, v22, v6
	buffer_gl0_inv
	v_lshlrev_b32_sdwa v6, v4, v24 dst_sel:DWORD dst_unused:UNUSED_PAD src0_sel:DWORD src1_sel:BYTE_0
	global_load_dwordx2 v[9:10], v0, s[8:9]
	v_and_b32_e32 v26, 0xffff, v5
	v_lshlrev_b32_sdwa v0, v4, v25 dst_sel:DWORD dst_unused:UNUSED_PAD src0_sel:DWORD src1_sel:BYTE_0
	v_lshl_add_u32 v4, v3, 2, v18
	v_and_b32_e32 v27, 0xffff, v15
	s_clause 0x1
	global_load_dwordx2 v[11:12], v6, s[8:9]
	global_load_dwordx2 v[13:14], v0, s[8:9]
	v_lshlrev_b32_e32 v0, 3, v3
	v_mov_b32_e32 v18, 2
	v_and_b32_e32 v19, 0xffff, v19
	v_mad_u32_u24 v26, v26, 36, 0
	v_mad_u32_u24 v27, v27, 36, 0
	v_sub_nc_u32_e32 v0, v16, v0
	v_lshlrev_b32_sdwa v24, v18, v24 dst_sel:DWORD dst_unused:UNUSED_PAD src0_sel:DWORD src1_sel:BYTE_0
	ds_read_b32 v8, v4
	ds_read2_b32 v[5:6], v0 offset0:11 offset1:22
	ds_read2_b32 v[15:16], v0 offset0:77 offset1:88
	;; [unrolled: 1-line block ×4, first 2 shown]
	v_mad_u32_u24 v19, v19, 36, 0
	v_lshlrev_b32_sdwa v7, v18, v7 dst_sel:DWORD dst_unused:UNUSED_PAD src0_sel:DWORD src1_sel:BYTE_0
	v_lshlrev_b32_sdwa v18, v18, v25 dst_sel:DWORD dst_unused:UNUSED_PAD src0_sel:DWORD src1_sel:BYTE_0
	v_add3_u32 v29, v26, v24, v17
	s_waitcnt vmcnt(0) lgkmcnt(0)
	s_barrier
	v_add3_u32 v28, v19, v7, v17
	v_add3_u32 v27, v27, v18, v17
	buffer_gl0_inv
	v_lshrrev_b32_e32 v30, 16, v15
	v_lshrrev_b32_e32 v24, 16, v20
	;; [unrolled: 1-line block ×9, first 2 shown]
	v_mul_f16_sdwa v32, v9, v24 dst_sel:DWORD dst_unused:UNUSED_PAD src0_sel:WORD_1 src1_sel:DWORD
	v_mul_f16_sdwa v33, v9, v20 dst_sel:DWORD dst_unused:UNUSED_PAD src0_sel:WORD_1 src1_sel:DWORD
	v_mul_f16_sdwa v34, v10, v25 dst_sel:DWORD dst_unused:UNUSED_PAD src0_sel:WORD_1 src1_sel:DWORD
	v_mul_f16_sdwa v35, v10, v23 dst_sel:DWORD dst_unused:UNUSED_PAD src0_sel:WORD_1 src1_sel:DWORD
	v_mul_f16_sdwa v36, v11, v26 dst_sel:DWORD dst_unused:UNUSED_PAD src0_sel:WORD_1 src1_sel:DWORD
	v_mul_f16_sdwa v37, v11, v21 dst_sel:DWORD dst_unused:UNUSED_PAD src0_sel:WORD_1 src1_sel:DWORD
	v_mul_f16_sdwa v38, v12, v30 dst_sel:DWORD dst_unused:UNUSED_PAD src0_sel:WORD_1 src1_sel:DWORD
	v_mul_f16_sdwa v39, v12, v15 dst_sel:DWORD dst_unused:UNUSED_PAD src0_sel:WORD_1 src1_sel:DWORD
	v_mul_f16_sdwa v40, v13, v31 dst_sel:DWORD dst_unused:UNUSED_PAD src0_sel:WORD_1 src1_sel:DWORD
	v_mul_f16_sdwa v41, v13, v22 dst_sel:DWORD dst_unused:UNUSED_PAD src0_sel:WORD_1 src1_sel:DWORD
	v_mul_f16_sdwa v42, v7, v14 dst_sel:DWORD dst_unused:UNUSED_PAD src0_sel:DWORD src1_sel:WORD_1
	v_mul_f16_sdwa v43, v16, v14 dst_sel:DWORD dst_unused:UNUSED_PAD src0_sel:DWORD src1_sel:WORD_1
	v_fma_f16 v20, v9, v20, -v32
	v_fmac_f16_e32 v33, v9, v24
	v_fma_f16 v9, v10, v23, -v34
	v_fmac_f16_e32 v35, v10, v25
	;; [unrolled: 2-line block ×6, first 2 shown]
	v_add_f16_e32 v14, v20, v9
	v_add_f16_e32 v21, v33, v35
	v_add_f16_e32 v7, v8, v20
	v_add_f16_e32 v24, v10, v11
	v_add_f16_e32 v30, v37, v39
	v_add_f16_e32 v32, v12, v13
	v_add_f16_e32 v36, v41, v43
	v_sub_f16_e32 v23, v33, v35
	v_add_f16_e32 v16, v19, v33
	v_sub_f16_e32 v20, v20, v9
	v_fmac_f16_e32 v8, -0.5, v14
	v_fmac_f16_e32 v19, -0.5, v21
	v_add_f16_e32 v22, v5, v10
	v_sub_f16_e32 v25, v37, v39
	v_add_f16_e32 v26, v18, v37
	v_sub_f16_e32 v31, v10, v11
	v_add_f16_e32 v15, v7, v9
	v_fma_f16 v9, -0.5, v24, v5
	v_fmac_f16_e32 v18, -0.5, v30
	v_add_f16_e32 v10, v6, v12
	v_sub_f16_e32 v33, v41, v43
	v_add_f16_e32 v34, v17, v41
	v_sub_f16_e32 v37, v12, v13
	v_fmac_f16_e32 v6, -0.5, v32
	v_fmac_f16_e32 v17, -0.5, v36
	v_add_f16_e32 v16, v16, v35
	v_fmamk_f16 v7, v23, 0x3aee, v8
	v_fmamk_f16 v24, v20, 0xbaee, v19
	v_fmac_f16_e32 v8, 0xbaee, v23
	v_fmac_f16_e32 v19, 0x3aee, v20
	v_add_f16_e32 v11, v22, v11
	v_add_f16_e32 v21, v26, v39
	v_fmamk_f16 v12, v25, 0x3aee, v9
	v_fmac_f16_e32 v9, 0xbaee, v25
	v_fmamk_f16 v25, v31, 0xbaee, v18
	v_fmac_f16_e32 v18, 0x3aee, v31
	v_add_f16_e32 v10, v10, v13
	v_add_f16_e32 v22, v34, v43
	v_fmamk_f16 v5, v33, 0x3aee, v6
	v_fmamk_f16 v26, v37, 0xbaee, v17
	v_fmac_f16_e32 v6, 0xbaee, v33
	v_fmac_f16_e32 v17, 0x3aee, v37
	v_pack_b32_f16 v13, v15, v16
	v_pack_b32_f16 v23, v7, v24
	;; [unrolled: 1-line block ×9, first 2 shown]
	ds_write2_b32 v28, v13, v23 offset1:3
	ds_write_b32 v28, v30 offset:24
	ds_write2_b32 v29, v14, v31 offset1:3
	ds_write_b32 v29, v32 offset:24
	;; [unrolled: 2-line block ×3, first 2 shown]
	s_waitcnt lgkmcnt(0)
	s_barrier
	buffer_gl0_inv
                                        ; implicit-def: $vgpr28
                                        ; implicit-def: $vgpr14
                                        ; implicit-def: $vgpr27
	s_and_saveexec_b32 s1, s0
	s_cbranch_execnz .LBB0_13
; %bb.11:
	s_or_b32 exec_lo, exec_lo, s1
	s_and_b32 s0, vcc_lo, s0
	s_and_saveexec_b32 s1, s0
	s_cbranch_execnz .LBB0_14
.LBB0_12:
	s_endpgm
.LBB0_13:
	ds_read_b32 v15, v4
	ds_read2_b32 v[5:6], v0 offset0:63 offset1:72
	ds_read2_b32 v[13:14], v0 offset0:81 offset1:90
	;; [unrolled: 1-line block ×5, first 2 shown]
	s_waitcnt lgkmcnt(5)
	v_lshrrev_b32_e32 v16, 16, v15
	s_waitcnt lgkmcnt(4)
	v_lshrrev_b32_e32 v17, 16, v6
	;; [unrolled: 2-line block ×3, first 2 shown]
	v_lshrrev_b32_e32 v28, 16, v14
	s_waitcnt lgkmcnt(2)
	v_lshrrev_b32_e32 v24, 16, v7
	v_lshrrev_b32_e32 v19, 16, v8
	s_waitcnt lgkmcnt(1)
	v_lshrrev_b32_e32 v21, 16, v11
	;; [unrolled: 3-line block ×3, first 2 shown]
	v_lshrrev_b32_e32 v22, 16, v10
	v_lshrrev_b32_e32 v26, 16, v5
	s_or_b32 exec_lo, exec_lo, s1
	s_and_b32 s0, vcc_lo, s0
	s_and_saveexec_b32 s1, s0
	s_cbranch_execz .LBB0_12
.LBB0_14:
	v_mul_u32_u24_e32 v0, 10, v3
	v_mov_b32_e32 v4, 0
	v_lshlrev_b32_e32 v0, 2, v0
	v_lshlrev_b64 v[3:4], 2, v[3:4]
	s_clause 0x2
	global_load_dwordx4 v[29:32], v0, s[8:9] offset:24
	global_load_dwordx2 v[37:38], v0, s[8:9] offset:56
	global_load_dwordx4 v[33:36], v0, s[8:9] offset:40
	v_add_co_u32 v0, vcc_lo, s2, v1
	v_add_co_ci_u32_e32 v1, vcc_lo, s3, v2, vcc_lo
	v_add_co_u32 v0, vcc_lo, v0, v3
	v_add_co_ci_u32_e32 v1, vcc_lo, v1, v4, vcc_lo
	s_waitcnt vmcnt(2)
	v_mul_f16_sdwa v3, v24, v29 dst_sel:DWORD dst_unused:UNUSED_PAD src0_sel:DWORD src1_sel:WORD_1
	v_mul_f16_sdwa v40, v7, v29 dst_sel:DWORD dst_unused:UNUSED_PAD src0_sel:DWORD src1_sel:WORD_1
	;; [unrolled: 1-line block ×3, first 2 shown]
	s_waitcnt vmcnt(1)
	v_mul_f16_sdwa v42, v27, v37 dst_sel:DWORD dst_unused:UNUSED_PAD src0_sel:DWORD src1_sel:WORD_1
	v_mul_f16_sdwa v43, v8, v30 dst_sel:DWORD dst_unused:UNUSED_PAD src0_sel:DWORD src1_sel:WORD_1
	v_fma_f16 v54, v7, v29, -v3
	v_fmac_f16_e32 v40, v24, v29
	v_mul_f16_sdwa v39, v28, v38 dst_sel:DWORD dst_unused:UNUSED_PAD src0_sel:DWORD src1_sel:WORD_1
	v_mul_f16_sdwa v2, v14, v38 dst_sel:DWORD dst_unused:UNUSED_PAD src0_sel:DWORD src1_sel:WORD_1
	;; [unrolled: 1-line block ×3, first 2 shown]
	s_waitcnt vmcnt(0)
	v_mul_f16_sdwa v45, v17, v36 dst_sel:DWORD dst_unused:UNUSED_PAD src0_sel:DWORD src1_sel:WORD_1
	v_mul_f16_sdwa v47, v25, v32 dst_sel:DWORD dst_unused:UNUSED_PAD src0_sel:DWORD src1_sel:WORD_1
	;; [unrolled: 1-line block ×8, first 2 shown]
	v_fma_f16 v8, v8, v30, -v41
	v_fma_f16 v7, v13, v37, -v42
	v_fmac_f16_e32 v43, v19, v30
	v_add_f16_e32 v29, v16, v40
	v_add_f16_e32 v30, v15, v54
	v_mul_f16_sdwa v4, v13, v37 dst_sel:DWORD dst_unused:UNUSED_PAD src0_sel:DWORD src1_sel:WORD_1
	v_mul_f16_sdwa v23, v5, v35 dst_sel:DWORD dst_unused:UNUSED_PAD src0_sel:DWORD src1_sel:WORD_1
	;; [unrolled: 1-line block ×4, first 2 shown]
	v_fma_f16 v3, v14, v38, -v39
	v_fmac_f16_e32 v2, v28, v38
	v_fma_f16 v11, v11, v31, -v44
	v_fma_f16 v6, v6, v36, -v45
	;; [unrolled: 1-line block ×6, first 2 shown]
	v_fmac_f16_e32 v20, v17, v36
	v_fmac_f16_e32 v46, v21, v31
	;; [unrolled: 1-line block ×3, first 2 shown]
	v_sub_f16_e32 v17, v8, v7
	v_add_f16_e32 v32, v8, v7
	v_add_f16_e32 v29, v29, v43
	;; [unrolled: 1-line block ×3, first 2 shown]
	v_fmac_f16_e32 v4, v27, v37
	v_fmac_f16_e32 v23, v26, v35
	;; [unrolled: 1-line block ×4, first 2 shown]
	v_sub_f16_e32 v13, v54, v3
	v_sub_f16_e32 v19, v11, v6
	;; [unrolled: 1-line block ×5, first 2 shown]
	v_add_f16_e32 v29, v29, v46
	v_add_f16_e32 v8, v8, v11
	;; [unrolled: 1-line block ×8, first 2 shown]
	v_sub_f16_e32 v31, v43, v4
	v_sub_f16_e32 v33, v46, v20
	;; [unrolled: 1-line block ×4, first 2 shown]
	v_mul_f16_e32 v39, 0xb482, v13
	v_mul_f16_e32 v40, 0x3853, v17
	v_mul_f16_e32 v41, 0xba0c, v19
	v_mul_f16_e32 v42, 0x3b47, v22
	v_mul_f16_e32 v44, 0xba0c, v13
	v_mul_f16_e32 v45, 0x3beb, v17
	v_mul_f16_e32 v47, 0xb853, v19
	v_mul_f16_e32 v48, 0xb482, v22
	v_mul_f16_e32 v50, 0xbbeb, v13
	v_mul_f16_e32 v51, 0x3482, v17
	v_mul_f16_e32 v54, 0x3b47, v19
	v_mul_f16_e32 v55, 0xb853, v22
	v_mul_f16_e32 v56, 0xbb47, v13
	v_mul_f16_e32 v57, 0xba0c, v17
	v_mul_f16_e32 v58, 0x3482, v19
	v_mul_f16_e32 v13, 0xb853, v13
	v_mul_f16_e32 v17, 0xbb47, v17
	v_mul_f16_e32 v19, 0xbbeb, v19
	v_mul_f16_e32 v59, 0x3beb, v22
	v_mul_f16_e32 v22, 0xba0c, v22
	v_mul_f16_e32 v60, 0xbbeb, v25
	v_mul_f16_e32 v61, 0x3b47, v25
	v_mul_f16_e32 v62, 0xba0c, v25
	v_mul_f16_e32 v63, 0x3853, v25
	v_mul_f16_e32 v25, 0xb482, v25
	v_mul_f16_e32 v64, 0xb482, v27
	v_mul_f16_e32 v65, 0xba0c, v27
	v_mul_f16_e32 v66, 0xbbeb, v27
	v_mul_f16_e32 v67, 0xbb47, v27
	v_mul_f16_e32 v27, 0xb853, v27
	v_add_f16_e32 v36, v12, v5
	v_add_f16_e32 v8, v8, v12
	;; [unrolled: 1-line block ×5, first 2 shown]
	v_mul_f16_e32 v30, 0x3853, v31
	v_mul_f16_e32 v43, 0x3beb, v31
	;; [unrolled: 1-line block ×20, first 2 shown]
	v_fmamk_f16 v82, v14, 0xbbad, v39
	v_fmamk_f16 v83, v18, 0x3abb, v40
	;; [unrolled: 1-line block ×13, first 2 shown]
	v_fma_f16 v39, v14, 0xbbad, -v39
	v_fma_f16 v44, v14, 0xb93d, -v44
	v_fma_f16 v50, v14, 0xb08e, -v50
	v_fma_f16 v56, v14, 0x36a6, -v56
	v_fma_f16 v13, v14, 0x3abb, -v13
	v_fmamk_f16 v14, v18, 0x36a6, v17
	v_fma_f16 v40, v18, 0x3abb, -v40
	v_fma_f16 v45, v18, 0xb08e, -v45
	v_fma_f16 v51, v18, 0xbbad, -v51
	v_fma_f16 v57, v18, 0xb93d, -v57
	v_fma_f16 v17, v18, 0x36a6, -v17
	v_fmamk_f16 v18, v21, 0xb08e, v19
	;; [unrolled: 6-line block ×3, first 2 shown]
	v_fma_f16 v42, v24, 0x36a6, -v42
	v_fmamk_f16 v95, v24, 0xbbad, v48
	v_fma_f16 v48, v24, 0xbbad, -v48
	v_fmamk_f16 v96, v24, 0x3abb, v55
	;; [unrolled: 2-line block ×9, first 2 shown]
	v_fma_f16 v25, v26, 0xbbad, -v25
	v_fma_f16 v26, v28, 0xbbad, -v64
	v_fmac_f16_e32 v64, 0xbbad, v28
	v_fma_f16 v106, v28, 0x3abb, -v27
	v_fma_f16 v103, v28, 0xb93d, -v65
	v_fmac_f16_e32 v65, 0xb93d, v28
	;; [unrolled: 3-line block ×3, first 2 shown]
	v_fmac_f16_e32 v67, 0x36a6, v28
	v_add_f16_e32 v8, v8, v9
	v_add_f16_e32 v9, v12, v53
	v_fmac_f16_e32 v27, 0x3abb, v28
	v_fma_f16 v28, v32, 0x3abb, -v30
	v_fmac_f16_e32 v30, 0x3abb, v32
	v_fma_f16 v107, v32, 0xb08e, -v43
	;; [unrolled: 2-line block ×20, first 2 shown]
	v_fmac_f16_e32 v37, 0xbbad, v38
	v_add_f16_e32 v29, v16, v82
	v_add_f16_e32 v38, v16, v85
	;; [unrolled: 1-line block ×110, first 2 shown]
	v_pack_b32_f16 v6, v18, v14
	v_pack_b32_f16 v8, v9, v8
	;; [unrolled: 1-line block ×11, first 2 shown]
	global_store_dword v[0:1], v6, off offset:36
	global_store_dword v[0:1], v7, off offset:72
	;; [unrolled: 1-line block ×9, first 2 shown]
	global_store_dword v[0:1], v2, off
	global_store_dword v[0:1], v13, off offset:360
	s_endpgm
	.section	.rodata,"a",@progbits
	.p2align	6, 0x0
	.amdhsa_kernel fft_rtc_fwd_len99_factors_3_3_11_wgs_220_tpt_11_half_ip_CI_unitstride_sbrr_dirReg
		.amdhsa_group_segment_fixed_size 0
		.amdhsa_private_segment_fixed_size 0
		.amdhsa_kernarg_size 88
		.amdhsa_user_sgpr_count 6
		.amdhsa_user_sgpr_private_segment_buffer 1
		.amdhsa_user_sgpr_dispatch_ptr 0
		.amdhsa_user_sgpr_queue_ptr 0
		.amdhsa_user_sgpr_kernarg_segment_ptr 1
		.amdhsa_user_sgpr_dispatch_id 0
		.amdhsa_user_sgpr_flat_scratch_init 0
		.amdhsa_user_sgpr_private_segment_size 0
		.amdhsa_wavefront_size32 1
		.amdhsa_uses_dynamic_stack 0
		.amdhsa_system_sgpr_private_segment_wavefront_offset 0
		.amdhsa_system_sgpr_workgroup_id_x 1
		.amdhsa_system_sgpr_workgroup_id_y 0
		.amdhsa_system_sgpr_workgroup_id_z 0
		.amdhsa_system_sgpr_workgroup_info 0
		.amdhsa_system_vgpr_workitem_id 0
		.amdhsa_next_free_vgpr 121
		.amdhsa_next_free_sgpr 21
		.amdhsa_reserve_vcc 1
		.amdhsa_reserve_flat_scratch 0
		.amdhsa_float_round_mode_32 0
		.amdhsa_float_round_mode_16_64 0
		.amdhsa_float_denorm_mode_32 3
		.amdhsa_float_denorm_mode_16_64 3
		.amdhsa_dx10_clamp 1
		.amdhsa_ieee_mode 1
		.amdhsa_fp16_overflow 0
		.amdhsa_workgroup_processor_mode 1
		.amdhsa_memory_ordered 1
		.amdhsa_forward_progress 0
		.amdhsa_shared_vgpr_count 0
		.amdhsa_exception_fp_ieee_invalid_op 0
		.amdhsa_exception_fp_denorm_src 0
		.amdhsa_exception_fp_ieee_div_zero 0
		.amdhsa_exception_fp_ieee_overflow 0
		.amdhsa_exception_fp_ieee_underflow 0
		.amdhsa_exception_fp_ieee_inexact 0
		.amdhsa_exception_int_div_zero 0
	.end_amdhsa_kernel
	.text
.Lfunc_end0:
	.size	fft_rtc_fwd_len99_factors_3_3_11_wgs_220_tpt_11_half_ip_CI_unitstride_sbrr_dirReg, .Lfunc_end0-fft_rtc_fwd_len99_factors_3_3_11_wgs_220_tpt_11_half_ip_CI_unitstride_sbrr_dirReg
                                        ; -- End function
	.section	.AMDGPU.csdata,"",@progbits
; Kernel info:
; codeLenInByte = 5280
; NumSgprs: 23
; NumVgprs: 121
; ScratchSize: 0
; MemoryBound: 0
; FloatMode: 240
; IeeeMode: 1
; LDSByteSize: 0 bytes/workgroup (compile time only)
; SGPRBlocks: 2
; VGPRBlocks: 15
; NumSGPRsForWavesPerEU: 23
; NumVGPRsForWavesPerEU: 121
; Occupancy: 8
; WaveLimiterHint : 1
; COMPUTE_PGM_RSRC2:SCRATCH_EN: 0
; COMPUTE_PGM_RSRC2:USER_SGPR: 6
; COMPUTE_PGM_RSRC2:TRAP_HANDLER: 0
; COMPUTE_PGM_RSRC2:TGID_X_EN: 1
; COMPUTE_PGM_RSRC2:TGID_Y_EN: 0
; COMPUTE_PGM_RSRC2:TGID_Z_EN: 0
; COMPUTE_PGM_RSRC2:TIDIG_COMP_CNT: 0
	.text
	.p2alignl 6, 3214868480
	.fill 48, 4, 3214868480
	.type	__hip_cuid_7fdfd835e35a1d8,@object ; @__hip_cuid_7fdfd835e35a1d8
	.section	.bss,"aw",@nobits
	.globl	__hip_cuid_7fdfd835e35a1d8
__hip_cuid_7fdfd835e35a1d8:
	.byte	0                               ; 0x0
	.size	__hip_cuid_7fdfd835e35a1d8, 1

	.ident	"AMD clang version 19.0.0git (https://github.com/RadeonOpenCompute/llvm-project roc-6.4.0 25133 c7fe45cf4b819c5991fe208aaa96edf142730f1d)"
	.section	".note.GNU-stack","",@progbits
	.addrsig
	.addrsig_sym __hip_cuid_7fdfd835e35a1d8
	.amdgpu_metadata
---
amdhsa.kernels:
  - .args:
      - .actual_access:  read_only
        .address_space:  global
        .offset:         0
        .size:           8
        .value_kind:     global_buffer
      - .offset:         8
        .size:           8
        .value_kind:     by_value
      - .actual_access:  read_only
        .address_space:  global
        .offset:         16
        .size:           8
        .value_kind:     global_buffer
      - .actual_access:  read_only
        .address_space:  global
        .offset:         24
        .size:           8
        .value_kind:     global_buffer
      - .offset:         32
        .size:           8
        .value_kind:     by_value
      - .actual_access:  read_only
        .address_space:  global
        .offset:         40
        .size:           8
        .value_kind:     global_buffer
      - .actual_access:  read_only
        .address_space:  global
        .offset:         48
        .size:           8
        .value_kind:     global_buffer
      - .offset:         56
        .size:           4
        .value_kind:     by_value
      - .actual_access:  read_only
        .address_space:  global
        .offset:         64
        .size:           8
        .value_kind:     global_buffer
      - .actual_access:  read_only
        .address_space:  global
        .offset:         72
        .size:           8
        .value_kind:     global_buffer
      - .address_space:  global
        .offset:         80
        .size:           8
        .value_kind:     global_buffer
    .group_segment_fixed_size: 0
    .kernarg_segment_align: 8
    .kernarg_segment_size: 88
    .language:       OpenCL C
    .language_version:
      - 2
      - 0
    .max_flat_workgroup_size: 220
    .name:           fft_rtc_fwd_len99_factors_3_3_11_wgs_220_tpt_11_half_ip_CI_unitstride_sbrr_dirReg
    .private_segment_fixed_size: 0
    .sgpr_count:     23
    .sgpr_spill_count: 0
    .symbol:         fft_rtc_fwd_len99_factors_3_3_11_wgs_220_tpt_11_half_ip_CI_unitstride_sbrr_dirReg.kd
    .uniform_work_group_size: 1
    .uses_dynamic_stack: false
    .vgpr_count:     121
    .vgpr_spill_count: 0
    .wavefront_size: 32
    .workgroup_processor_mode: 1
amdhsa.target:   amdgcn-amd-amdhsa--gfx1030
amdhsa.version:
  - 1
  - 2
...

	.end_amdgpu_metadata
